;; amdgpu-corpus repo=zjin-lcf/HeCBench kind=compiled arch=gfx906 opt=O3
	.amdgcn_target "amdgcn-amd-amdhsa--gfx906"
	.amdhsa_code_object_version 6
	.text
	.protected	_Z9boxmullerPfi         ; -- Begin function _Z9boxmullerPfi
	.globl	_Z9boxmullerPfi
	.p2align	8
	.type	_Z9boxmullerPfi,@function
_Z9boxmullerPfi:                        ; @_Z9boxmullerPfi
; %bb.0:
	s_load_dword s12, s[4:5], 0x8
	s_waitcnt lgkmcnt(0)
	s_cmp_lt_i32 s12, 1
	s_cbranch_scc1 .LBB0_11
; %bb.1:
	s_load_dword s0, s[4:5], 0x1c
	s_load_dwordx2 s[8:9], s[4:5], 0x0
	s_mov_b32 s13, 0
	s_brev_b32 s14, 18
	s_mov_b32 s15, 0xfe5163ab
	s_waitcnt lgkmcnt(0)
	s_and_b32 s0, s0, 0xffff
	s_mul_i32 s6, s6, s0
	v_mov_b32_e32 v7, s9
	v_add_u32_e32 v0, s6, v0
	s_mov_b32 s9, 0x800000
	v_mov_b32_e32 v2, 0
	s_mov_b32 s16, 0x3c439041
	s_mov_b32 s17, 0xdb629599
	;; [unrolled: 1-line block ×12, first 2 shown]
	v_mov_b32_e32 v8, 0xbe2aaa9d
	v_mov_b32_e32 v9, 0x3d2aabf7
	;; [unrolled: 1-line block ×3, first 2 shown]
	s_movk_i32 s28, 0x1f8
	v_not_b32_e32 v11, 63
	v_not_b32_e32 v12, 31
	v_mov_b32_e32 v13, 0x7fc00000
	s_branch .LBB0_3
.LBB0_2:                                ;   in Loop: Header=BB0_3 Depth=1
	s_or_b64 exec, exec, s[0:1]
	v_mul_f32_e32 v6, v5, v5
	v_mov_b32_e32 v17, 0x3c0881c4
	v_fmac_f32_e32 v17, 0xb94c1982, v6
	v_fma_f32 v17, v6, v17, v8
	v_mul_f32_e32 v17, v6, v17
	v_fmac_f32_e32 v5, v5, v17
	v_mov_b32_e32 v17, 0xbab64f3b
	v_fmac_f32_e32 v17, 0x37d75334, v6
	v_fma_f32 v17, v6, v17, v9
	v_fma_f32 v17, v6, v17, v10
	v_fma_f32 v6, v6, v17, 1.0
	v_and_b32_e32 v17, 1, v1
	v_cmp_eq_u32_e64 s[0:1], 0, v17
	v_lshlrev_b32_e32 v1, 30, v1
	v_cndmask_b32_e64 v5, v6, v5, s[0:1]
	v_and_b32_e32 v1, 0x80000000, v1
	v_xor_b32_e32 v6, v15, v14
	v_xor_b32_e32 v1, v6, v1
	;; [unrolled: 1-line block ×3, first 2 shown]
	v_cndmask_b32_e32 v1, v13, v1, vcc
	s_add_i32 s13, s13, 2
	v_mul_f32_e32 v1, v16, v1
	s_cmp_ge_i32 s13, s12
	v_add_u32_e32 v0, 0x2000, v0
	global_store_dword v[3:4], v1, off
	s_cbranch_scc1 .LBB0_11
.LBB0_3:                                ; =>This Inner Loop Header: Depth=1
	v_add_u32_e32 v3, 0x1000, v0
	v_ashrrev_i32_e32 v4, 31, v3
	v_lshlrev_b64 v[3:4], 2, v[3:4]
	v_ashrrev_i32_e32 v1, 31, v0
	v_lshlrev_b64 v[5:6], 2, v[0:1]
	v_add_co_u32_e32 v3, vcc, s8, v3
	v_addc_co_u32_e32 v4, vcc, v7, v4, vcc
	global_load_dword v1, v[3:4], off
	v_add_co_u32_e32 v5, vcc, s8, v5
	v_addc_co_u32_e32 v6, vcc, v7, v6, vcc
	global_load_dword v16, v[5:6], off
                                        ; implicit-def: $vgpr17
	s_waitcnt vmcnt(1)
	v_mul_f32_e32 v14, 0x40c90fdb, v1
	v_and_b32_e32 v15, 0x7fffffff, v14
	v_cmp_nlt_f32_e64 s[6:7], |v14|, s14
                                        ; implicit-def: $vgpr1
	s_and_saveexec_b64 s[0:1], s[6:7]
	s_xor_b64 s[10:11], exec, s[0:1]
	s_cbranch_execz .LBB0_5
; %bb.4:                                ;   in Loop: Header=BB0_3 Depth=1
	v_and_b32_e32 v1, 0x7fffff, v15
	v_or_b32_e32 v24, 0x800000, v1
	v_mad_u64_u32 v[17:18], s[0:1], v24, s15, 0
	v_mov_b32_e32 v1, v18
	v_mad_u64_u32 v[18:19], s[0:1], v24, s16, v[1:2]
	v_mov_b32_e32 v1, v19
	v_mad_u64_u32 v[19:20], s[0:1], v24, s17, v[1:2]
	v_lshrrev_b32_e32 v1, 23, v15
	v_add_u32_e32 v22, 0xffffff88, v1
	v_mov_b32_e32 v1, v20
	v_mad_u64_u32 v[20:21], s[0:1], v24, s18, v[1:2]
	v_cmp_lt_u32_e32 vcc, 63, v22
	v_cndmask_b32_e32 v1, 0, v11, vcc
	v_add_u32_e32 v23, v1, v22
	v_mov_b32_e32 v1, v21
	v_mad_u64_u32 v[21:22], s[0:1], v24, s19, v[1:2]
	v_cmp_lt_u32_e64 s[0:1], 31, v23
	v_cndmask_b32_e64 v1, 0, v12, s[0:1]
	v_add_u32_e32 v25, v1, v23
	v_mov_b32_e32 v1, v22
	v_mad_u64_u32 v[22:23], s[2:3], v24, s20, v[1:2]
	v_cmp_lt_u32_e64 s[2:3], 31, v25
	v_cndmask_b32_e64 v1, 0, v12, s[2:3]
	v_add_u32_e32 v25, v1, v25
	v_mov_b32_e32 v1, v23
	v_mad_u64_u32 v[23:24], s[4:5], v24, s21, v[1:2]
	v_cndmask_b32_e32 v1, v20, v18, vcc
	v_cndmask_b32_e32 v18, v22, v20, vcc
	;; [unrolled: 1-line block ×5, first 2 shown]
	v_cndmask_b32_e64 v23, v22, v18, s[0:1]
	v_cndmask_b32_e64 v20, v20, v22, s[0:1]
	v_cndmask_b32_e64 v18, v18, v21, s[0:1]
	v_cndmask_b32_e64 v20, v20, v23, s[2:3]
	v_cndmask_b32_e64 v22, v23, v18, s[2:3]
	v_sub_u32_e32 v23, 32, v25
	v_cndmask_b32_e64 v21, v21, v1, s[0:1]
	v_alignbit_b32 v24, v20, v22, v23
	v_cmp_eq_u32_e64 s[4:5], 0, v25
	v_cndmask_b32_e64 v18, v18, v21, s[2:3]
	v_cndmask_b32_e64 v20, v24, v20, s[4:5]
	v_alignbit_b32 v24, v22, v18, v23
	v_cndmask_b32_e32 v17, v19, v17, vcc
	v_cndmask_b32_e64 v22, v24, v22, s[4:5]
	v_bfe_u32 v19, v20, 29, 1
	v_cndmask_b32_e64 v1, v1, v17, s[0:1]
	v_alignbit_b32 v24, v20, v22, 30
	v_sub_u32_e32 v26, 0, v19
	v_cndmask_b32_e64 v1, v21, v1, s[2:3]
	v_xor_b32_e32 v24, v24, v26
	v_alignbit_b32 v17, v18, v1, v23
	v_cndmask_b32_e64 v17, v17, v18, s[4:5]
	v_ffbh_u32_e32 v21, v24
	v_alignbit_b32 v18, v22, v17, 30
	v_min_u32_e32 v21, 32, v21
	v_alignbit_b32 v1, v17, v1, 30
	v_xor_b32_e32 v18, v18, v26
	v_sub_u32_e32 v22, 31, v21
	v_xor_b32_e32 v1, v1, v26
	v_alignbit_b32 v23, v24, v18, v22
	v_alignbit_b32 v1, v18, v1, v22
	;; [unrolled: 1-line block ×3, first 2 shown]
	v_ffbh_u32_e32 v18, v17
	v_min_u32_e32 v18, 32, v18
	v_lshrrev_b32_e32 v25, 29, v20
	v_not_b32_e32 v22, v18
	v_alignbit_b32 v1, v17, v1, v22
	v_lshlrev_b32_e32 v17, 31, v25
	v_or_b32_e32 v22, 0x33000000, v17
	v_add_lshl_u32 v18, v18, v21, 23
	v_lshrrev_b32_e32 v1, 9, v1
	v_sub_u32_e32 v18, v22, v18
	v_or_b32_e32 v17, 0.5, v17
	v_lshlrev_b32_e32 v21, 23, v21
	v_or_b32_e32 v1, v18, v1
	v_lshrrev_b32_e32 v18, 9, v23
	v_sub_u32_e32 v17, v17, v21
	v_or_b32_e32 v17, v18, v17
	v_mul_f32_e32 v18, 0x3fc90fda, v17
	v_fma_f32 v21, v17, s22, -v18
	v_fmac_f32_e32 v21, 0x33a22168, v17
	v_fmac_f32_e32 v21, 0x3fc90fda, v1
	v_lshrrev_b32_e32 v1, 30, v20
	v_add_f32_e32 v17, v18, v21
	v_add_u32_e32 v1, v19, v1
.LBB0_5:                                ;   in Loop: Header=BB0_3 Depth=1
	s_andn2_saveexec_b64 s[0:1], s[10:11]
; %bb.6:                                ;   in Loop: Header=BB0_3 Depth=1
	v_mul_f32_e64 v1, |v14|, s23
	v_rndne_f32_e32 v18, v1
	v_cvt_i32_f32_e32 v1, v18
	v_fma_f32 v17, v18, s24, |v14|
	v_fmac_f32_e32 v17, 0xb3a22168, v18
	v_fmac_f32_e32 v17, 0xa7c234c4, v18
; %bb.7:                                ;   in Loop: Header=BB0_3 Depth=1
	s_or_b64 exec, exec, s[0:1]
	s_waitcnt vmcnt(0)
	v_cmp_gt_f32_e32 vcc, s9, v16
	v_cndmask_b32_e64 v18, 0, 32, vcc
	v_ldexp_f32 v16, v16, v18
	v_log_f32_e32 v16, v16
	v_mov_b32_e32 v18, 0x41b17218
	v_cndmask_b32_e32 v18, 0, v18, vcc
	v_mul_f32_e32 v19, 0x3f317217, v16
	v_fma_f32 v19, v16, s25, -v19
	v_fmac_f32_e32 v19, 0x3377d1cf, v16
	v_fmac_f32_e32 v19, 0x3f317217, v16
	v_cmp_lt_f32_e64 vcc, |v16|, s26
	v_cndmask_b32_e32 v16, v16, v19, vcc
	v_sub_f32_e32 v16, v16, v18
	v_mul_f32_e32 v16, -2.0, v16
	v_mul_f32_e32 v18, 0x4f800000, v16
	v_cmp_gt_f32_e32 vcc, s27, v16
	v_cndmask_b32_e32 v16, v16, v18, vcc
	v_sqrt_f32_e32 v18, v16
	v_add_u32_e32 v19, -1, v18
	v_fma_f32 v21, -v19, v18, v16
	v_add_u32_e32 v20, 1, v18
	v_cmp_ge_f32_e64 s[0:1], 0, v21
	v_cndmask_b32_e64 v19, v18, v19, s[0:1]
	v_fma_f32 v18, -v20, v18, v16
	v_cmp_lt_f32_e64 s[0:1], 0, v18
	v_cndmask_b32_e64 v18, v19, v20, s[0:1]
	v_mul_f32_e32 v19, 0x37800000, v18
	v_cndmask_b32_e32 v18, v18, v19, vcc
	v_mov_b32_e32 v19, 0x260
	v_cmp_class_f32_e32 vcc, v16, v19
	v_cndmask_b32_e32 v16, v18, v16, vcc
	v_mul_f32_e32 v18, v17, v17
	v_mov_b32_e32 v19, 0x3c0881c4
	v_fmac_f32_e32 v19, 0xb94c1982, v18
	v_fma_f32 v19, v18, v19, v8
	v_mul_f32_e32 v19, v18, v19
	v_fmac_f32_e32 v17, v17, v19
	v_mov_b32_e32 v19, 0xbab64f3b
	v_fmac_f32_e32 v19, 0x37d75334, v18
	v_fma_f32 v19, v18, v19, v9
	v_fma_f32 v19, v18, v19, v10
	v_fma_f32 v18, v18, v19, 1.0
	v_and_b32_e32 v19, 1, v1
	v_cmp_eq_u32_e32 vcc, 0, v19
	v_lshlrev_b32_e32 v1, 30, v1
	v_cndmask_b32_e64 v17, -v17, v18, vcc
	v_and_b32_e32 v1, 0x80000000, v1
	v_xor_b32_e32 v1, v1, v17
	v_cmp_class_f32_e64 vcc, v14, s28
	v_cndmask_b32_e32 v1, v13, v1, vcc
	v_mul_f32_e32 v1, v16, v1
	global_store_dword v[5:6], v1, off
                                        ; implicit-def: $vgpr1
                                        ; implicit-def: $vgpr5
	s_and_saveexec_b64 s[0:1], s[6:7]
	s_xor_b64 s[10:11], exec, s[0:1]
	s_cbranch_execz .LBB0_9
; %bb.8:                                ;   in Loop: Header=BB0_3 Depth=1
	v_and_b32_e32 v1, 0x7fffff, v15
	v_or_b32_e32 v23, 0x800000, v1
	v_mad_u64_u32 v[5:6], s[0:1], v23, s15, 0
	v_mov_b32_e32 v1, v6
	v_mad_u64_u32 v[17:18], s[0:1], v23, s16, v[1:2]
	v_mov_b32_e32 v1, v18
	;; [unrolled: 2-line block ×3, first 2 shown]
	v_mad_u64_u32 v[19:20], s[0:1], v23, s18, v[1:2]
	v_lshrrev_b32_e32 v1, 23, v15
	v_add_u32_e32 v6, 0xffffff88, v1
	v_mov_b32_e32 v1, v20
	v_mad_u64_u32 v[20:21], s[0:1], v23, s19, v[1:2]
	v_cmp_lt_u32_e64 s[0:1], 63, v6
	v_cndmask_b32_e64 v1, 0, v11, s[0:1]
	v_add_u32_e32 v6, v1, v6
	v_mov_b32_e32 v1, v21
	v_mad_u64_u32 v[21:22], s[2:3], v23, s20, v[1:2]
	v_cmp_lt_u32_e64 s[2:3], 31, v6
	v_cndmask_b32_e64 v1, 0, v12, s[2:3]
	;; [unrolled: 5-line block ×3, first 2 shown]
	v_add_u32_e32 v1, v1, v6
	v_cndmask_b32_e64 v6, v21, v19, s[0:1]
	v_cndmask_b32_e64 v22, v22, v20, s[0:1]
	;; [unrolled: 1-line block ×10, first 2 shown]
	v_sub_u32_e32 v23, 32, v1
	v_cndmask_b32_e64 v19, v20, v17, s[2:3]
	v_alignbit_b32 v24, v21, v22, v23
	v_cmp_eq_u32_e64 s[6:7], 0, v1
	v_cndmask_b32_e64 v6, v6, v19, s[4:5]
	v_cndmask_b32_e64 v1, v24, v21, s[6:7]
	v_alignbit_b32 v20, v22, v6, v23
	v_cndmask_b32_e64 v5, v18, v5, s[0:1]
	v_cndmask_b32_e64 v20, v20, v22, s[6:7]
	v_bfe_u32 v24, v1, 29, 1
	v_cndmask_b32_e64 v5, v17, v5, s[2:3]
	v_alignbit_b32 v21, v1, v20, 30
	v_sub_u32_e32 v25, 0, v24
	v_cndmask_b32_e64 v5, v19, v5, s[4:5]
	v_xor_b32_e32 v21, v21, v25
	v_alignbit_b32 v17, v6, v5, v23
	v_cndmask_b32_e64 v6, v17, v6, s[6:7]
	v_ffbh_u32_e32 v18, v21
	v_alignbit_b32 v17, v20, v6, 30
	v_min_u32_e32 v18, 32, v18
	v_alignbit_b32 v5, v6, v5, 30
	v_xor_b32_e32 v17, v17, v25
	v_sub_u32_e32 v19, 31, v18
	v_xor_b32_e32 v5, v5, v25
	v_alignbit_b32 v20, v21, v17, v19
	v_alignbit_b32 v5, v17, v5, v19
	;; [unrolled: 1-line block ×3, first 2 shown]
	v_ffbh_u32_e32 v17, v6
	v_min_u32_e32 v17, 32, v17
	v_lshrrev_b32_e32 v22, 29, v1
	v_not_b32_e32 v19, v17
	v_alignbit_b32 v5, v6, v5, v19
	v_lshlrev_b32_e32 v6, 31, v22
	v_or_b32_e32 v19, 0x33000000, v6
	v_add_lshl_u32 v17, v17, v18, 23
	v_lshrrev_b32_e32 v5, 9, v5
	v_sub_u32_e32 v17, v19, v17
	v_or_b32_e32 v6, 0.5, v6
	v_lshlrev_b32_e32 v18, 23, v18
	v_or_b32_e32 v5, v17, v5
	v_lshrrev_b32_e32 v17, 9, v20
	v_sub_u32_e32 v6, v6, v18
	v_or_b32_e32 v6, v17, v6
	v_mul_f32_e32 v17, 0x3fc90fda, v6
	v_fma_f32 v18, v6, s22, -v17
	v_fmac_f32_e32 v18, 0x33a22168, v6
	v_fmac_f32_e32 v18, 0x3fc90fda, v5
	v_lshrrev_b32_e32 v1, 30, v1
	v_add_f32_e32 v5, v17, v18
	v_add_u32_e32 v1, v24, v1
.LBB0_9:                                ;   in Loop: Header=BB0_3 Depth=1
	s_andn2_saveexec_b64 s[0:1], s[10:11]
	s_cbranch_execz .LBB0_2
; %bb.10:                               ;   in Loop: Header=BB0_3 Depth=1
	v_mul_f32_e64 v1, |v14|, s23
	v_rndne_f32_e32 v6, v1
	v_cvt_i32_f32_e32 v1, v6
	v_fma_f32 v5, v6, s24, |v14|
	v_fmac_f32_e32 v5, 0xb3a22168, v6
	v_fmac_f32_e32 v5, 0xa7c234c4, v6
	s_branch .LBB0_2
.LBB0_11:
	s_endpgm
	.section	.rodata,"a",@progbits
	.p2align	6, 0x0
	.amdhsa_kernel _Z9boxmullerPfi
		.amdhsa_group_segment_fixed_size 0
		.amdhsa_private_segment_fixed_size 0
		.amdhsa_kernarg_size 272
		.amdhsa_user_sgpr_count 6
		.amdhsa_user_sgpr_private_segment_buffer 1
		.amdhsa_user_sgpr_dispatch_ptr 0
		.amdhsa_user_sgpr_queue_ptr 0
		.amdhsa_user_sgpr_kernarg_segment_ptr 1
		.amdhsa_user_sgpr_dispatch_id 0
		.amdhsa_user_sgpr_flat_scratch_init 0
		.amdhsa_user_sgpr_private_segment_size 0
		.amdhsa_uses_dynamic_stack 0
		.amdhsa_system_sgpr_private_segment_wavefront_offset 0
		.amdhsa_system_sgpr_workgroup_id_x 1
		.amdhsa_system_sgpr_workgroup_id_y 0
		.amdhsa_system_sgpr_workgroup_id_z 0
		.amdhsa_system_sgpr_workgroup_info 0
		.amdhsa_system_vgpr_workitem_id 0
		.amdhsa_next_free_vgpr 27
		.amdhsa_next_free_sgpr 29
		.amdhsa_reserve_vcc 1
		.amdhsa_reserve_flat_scratch 0
		.amdhsa_float_round_mode_32 0
		.amdhsa_float_round_mode_16_64 0
		.amdhsa_float_denorm_mode_32 3
		.amdhsa_float_denorm_mode_16_64 3
		.amdhsa_dx10_clamp 1
		.amdhsa_ieee_mode 1
		.amdhsa_fp16_overflow 0
		.amdhsa_exception_fp_ieee_invalid_op 0
		.amdhsa_exception_fp_denorm_src 0
		.amdhsa_exception_fp_ieee_div_zero 0
		.amdhsa_exception_fp_ieee_overflow 0
		.amdhsa_exception_fp_ieee_underflow 0
		.amdhsa_exception_fp_ieee_inexact 0
		.amdhsa_exception_int_div_zero 0
	.end_amdhsa_kernel
	.text
.Lfunc_end0:
	.size	_Z9boxmullerPfi, .Lfunc_end0-_Z9boxmullerPfi
                                        ; -- End function
	.set _Z9boxmullerPfi.num_vgpr, 27
	.set _Z9boxmullerPfi.num_agpr, 0
	.set _Z9boxmullerPfi.numbered_sgpr, 29
	.set _Z9boxmullerPfi.num_named_barrier, 0
	.set _Z9boxmullerPfi.private_seg_size, 0
	.set _Z9boxmullerPfi.uses_vcc, 1
	.set _Z9boxmullerPfi.uses_flat_scratch, 0
	.set _Z9boxmullerPfi.has_dyn_sized_stack, 0
	.set _Z9boxmullerPfi.has_recursion, 0
	.set _Z9boxmullerPfi.has_indirect_call, 0
	.section	.AMDGPU.csdata,"",@progbits
; Kernel info:
; codeLenInByte = 2012
; TotalNumSgprs: 33
; NumVgprs: 27
; ScratchSize: 0
; MemoryBound: 0
; FloatMode: 240
; IeeeMode: 1
; LDSByteSize: 0 bytes/workgroup (compile time only)
; SGPRBlocks: 4
; VGPRBlocks: 6
; NumSGPRsForWavesPerEU: 33
; NumVGPRsForWavesPerEU: 27
; Occupancy: 9
; WaveLimiterHint : 0
; COMPUTE_PGM_RSRC2:SCRATCH_EN: 0
; COMPUTE_PGM_RSRC2:USER_SGPR: 6
; COMPUTE_PGM_RSRC2:TRAP_HANDLER: 0
; COMPUTE_PGM_RSRC2:TGID_X_EN: 1
; COMPUTE_PGM_RSRC2:TGID_Y_EN: 0
; COMPUTE_PGM_RSRC2:TGID_Z_EN: 0
; COMPUTE_PGM_RSRC2:TIDIG_COMP_CNT: 0
	.text
	.protected	_Z2mtPK18mt_struct_strippedPfi ; -- Begin function _Z2mtPK18mt_struct_strippedPfi
	.globl	_Z2mtPK18mt_struct_strippedPfi
	.p2align	8
	.type	_Z2mtPK18mt_struct_strippedPfi,@function
_Z2mtPK18mt_struct_strippedPfi:         ; @_Z2mtPK18mt_struct_strippedPfi
; %bb.0:
	s_add_u32 s0, s0, s7
	s_load_dword s12, s[4:5], 0x24
	s_load_dwordx4 s[8:11], s[4:5], 0x0
	s_load_dword s7, s[4:5], 0x10
	s_addc_u32 s1, s1, 0
	s_waitcnt lgkmcnt(0)
	s_and_b32 s4, s12, 0xffff
	s_mul_i32 s6, s6, s4
	v_add_u32_e32 v4, s6, v0
	v_ashrrev_i32_e32 v5, 31, v4
	v_lshlrev_b64 v[0:1], 4, v[4:5]
	v_mov_b32_e32 v2, s9
	v_add_co_u32_e32 v0, vcc, s8, v0
	v_addc_co_u32_e32 v1, vcc, v2, v1, vcc
	global_load_dwordx4 v[0:3], v[0:1], off
	s_mov_b32 s6, 0x6c078965
	s_cmp_lt_i32 s7, 1
	s_waitcnt vmcnt(0)
	v_lshrrev_b32_e32 v5, 30, v3
	v_xor_b32_e32 v5, v5, v3
	v_mad_u64_u32 v[5:6], s[4:5], v5, s6, 1
	v_lshrrev_b32_e32 v6, 30, v5
	v_xor_b32_e32 v6, v6, v5
	v_mad_u64_u32 v[6:7], s[4:5], v6, s6, 2
	buffer_store_dword v5, off, s[0:3], 0 offset:4
	v_lshrrev_b32_e32 v7, 30, v6
	v_xor_b32_e32 v7, v7, v6
	v_mad_u64_u32 v[7:8], s[4:5], v7, s6, 3
	buffer_store_dword v6, off, s[0:3], 0 offset:8
	;; [unrolled: 4-line block ×8, first 2 shown]
	buffer_store_dword v3, off, s[0:3], 0
	buffer_store_dword v5, off, s[0:3], 0 offset:36
	v_lshrrev_b32_e32 v6, 30, v5
	v_xor_b32_e32 v6, v6, v5
	v_mad_u64_u32 v[6:7], s[4:5], v6, s6, 10
	v_lshrrev_b32_e32 v7, 30, v6
	v_xor_b32_e32 v7, v7, v6
	v_mad_u64_u32 v[7:8], s[4:5], v7, s6, 11
	;; [unrolled: 3-line block ×3, first 2 shown]
	buffer_store_dword v6, off, s[0:3], 0 offset:40
	buffer_store_dword v7, off, s[0:3], 0 offset:44
	;; [unrolled: 1-line block ×3, first 2 shown]
	v_lshrrev_b32_e32 v9, 30, v8
	v_xor_b32_e32 v9, v9, v8
	v_mad_u64_u32 v[9:10], s[4:5], v9, s6, 13
	v_lshrrev_b32_e32 v10, 30, v9
	v_xor_b32_e32 v10, v10, v9
	v_mad_u64_u32 v[10:11], s[4:5], v10, s6, 14
	;; [unrolled: 3-line block ×3, first 2 shown]
	buffer_store_dword v9, off, s[0:3], 0 offset:52
	buffer_store_dword v10, off, s[0:3], 0 offset:56
	;; [unrolled: 1-line block ×3, first 2 shown]
	v_lshrrev_b32_e32 v3, 30, v11
	v_xor_b32_e32 v3, v3, v11
	v_mad_u64_u32 v[12:13], s[4:5], v3, s6, 16
	v_lshrrev_b32_e32 v3, 30, v12
	v_xor_b32_e32 v3, v3, v12
	v_mad_u64_u32 v[5:6], s[4:5], v3, s6, 17
	buffer_store_dword v12, off, s[0:3], 0 offset:64
	buffer_store_dword v5, off, s[0:3], 0 offset:68
	v_lshrrev_b32_e32 v3, 30, v5
	v_xor_b32_e32 v3, v3, v5
	v_mad_u64_u32 v[6:7], s[4:5], v3, s6, 18
	buffer_store_dword v6, off, s[0:3], 0 offset:72
	s_cbranch_scc1 .LBB1_3
; %bb.1:
	buffer_load_dword v5, off, s[0:3], 0
	s_mov_b32 s4, 0
	v_mov_b32_e32 v3, s11
.LBB1_2:                                ; =>This Inner Loop Header: Depth=1
	s_cmp_gt_i32 s4, 17
	s_cselect_b32 s5, 0xffffffee, 1
	s_add_i32 s5, s5, s4
	s_lshl_b32 s6, s4, 2
	s_lshl_b32 s8, s5, 2
	s_cmp_gt_i32 s4, 9
	s_cselect_b32 s4, 0xffffffd8, 36
	v_mov_b32_e32 v6, s8
	s_add_i32 s4, s6, s4
	buffer_load_dword v9, v6, s[0:3], 0 offen
	v_mov_b32_e32 v6, s4
	buffer_load_dword v10, v6, s[0:3], 0 offen
	s_waitcnt vmcnt(2)
	v_lshrrev_b32_e32 v11, 1, v5
	v_ashrrev_i32_e32 v5, 31, v4
	v_lshlrev_b64 v[5:6], 2, v[4:5]
	v_mov_b32_e32 v12, s6
	v_add_co_u32_e32 v7, vcc, s10, v5
	v_addc_co_u32_e32 v8, vcc, v3, v6, vcc
	s_add_i32 s7, s7, -1
	v_add_u32_e32 v4, 0x1000, v4
	s_mov_b32 s4, s5
	s_cmp_lg_u32 s7, 0
	s_waitcnt vmcnt(1)
	v_bfe_i32 v5, v9, 0, 1
	v_and_b32_e32 v5, v5, v0
	s_waitcnt vmcnt(0)
	v_xor_b32_e32 v6, v10, v11
	v_xor_b32_e32 v6, v6, v5
	v_lshrrev_b32_e32 v5, 12, v6
	v_xor_b32_e32 v5, v5, v6
	v_lshlrev_b32_e32 v10, 7, v5
	v_and_b32_e32 v10, v10, v1
	v_xor_b32_e32 v5, v10, v5
	v_lshlrev_b32_e32 v10, 15, v5
	v_and_b32_e32 v10, v10, v2
	v_xor_b32_e32 v5, v10, v5
	v_lshrrev_b32_e32 v10, 18, v5
	v_xor_b32_e32 v5, v10, v5
	v_cvt_f32_u32_e32 v10, v5
	buffer_store_dword v6, v12, s[0:3], 0 offen
	v_mov_b32_e32 v5, v9
	v_add_f32_e32 v6, 1.0, v10
	v_mul_f32_e32 v6, 0x2f800000, v6
	global_store_dword v[7:8], v6, off
	s_cbranch_scc1 .LBB1_2
.LBB1_3:
	s_endpgm
	.section	.rodata,"a",@progbits
	.p2align	6, 0x0
	.amdhsa_kernel _Z2mtPK18mt_struct_strippedPfi
		.amdhsa_group_segment_fixed_size 0
		.amdhsa_private_segment_fixed_size 80
		.amdhsa_kernarg_size 280
		.amdhsa_user_sgpr_count 6
		.amdhsa_user_sgpr_private_segment_buffer 1
		.amdhsa_user_sgpr_dispatch_ptr 0
		.amdhsa_user_sgpr_queue_ptr 0
		.amdhsa_user_sgpr_kernarg_segment_ptr 1
		.amdhsa_user_sgpr_dispatch_id 0
		.amdhsa_user_sgpr_flat_scratch_init 0
		.amdhsa_user_sgpr_private_segment_size 0
		.amdhsa_uses_dynamic_stack 0
		.amdhsa_system_sgpr_private_segment_wavefront_offset 1
		.amdhsa_system_sgpr_workgroup_id_x 1
		.amdhsa_system_sgpr_workgroup_id_y 0
		.amdhsa_system_sgpr_workgroup_id_z 0
		.amdhsa_system_sgpr_workgroup_info 0
		.amdhsa_system_vgpr_workitem_id 0
		.amdhsa_next_free_vgpr 14
		.amdhsa_next_free_sgpr 13
		.amdhsa_reserve_vcc 1
		.amdhsa_reserve_flat_scratch 0
		.amdhsa_float_round_mode_32 0
		.amdhsa_float_round_mode_16_64 0
		.amdhsa_float_denorm_mode_32 3
		.amdhsa_float_denorm_mode_16_64 3
		.amdhsa_dx10_clamp 1
		.amdhsa_ieee_mode 1
		.amdhsa_fp16_overflow 0
		.amdhsa_exception_fp_ieee_invalid_op 0
		.amdhsa_exception_fp_denorm_src 0
		.amdhsa_exception_fp_ieee_div_zero 0
		.amdhsa_exception_fp_ieee_overflow 0
		.amdhsa_exception_fp_ieee_underflow 0
		.amdhsa_exception_fp_ieee_inexact 0
		.amdhsa_exception_int_div_zero 0
	.end_amdhsa_kernel
	.text
.Lfunc_end1:
	.size	_Z2mtPK18mt_struct_strippedPfi, .Lfunc_end1-_Z2mtPK18mt_struct_strippedPfi
                                        ; -- End function
	.set _Z2mtPK18mt_struct_strippedPfi.num_vgpr, 14
	.set _Z2mtPK18mt_struct_strippedPfi.num_agpr, 0
	.set _Z2mtPK18mt_struct_strippedPfi.numbered_sgpr, 13
	.set _Z2mtPK18mt_struct_strippedPfi.num_named_barrier, 0
	.set _Z2mtPK18mt_struct_strippedPfi.private_seg_size, 80
	.set _Z2mtPK18mt_struct_strippedPfi.uses_vcc, 1
	.set _Z2mtPK18mt_struct_strippedPfi.uses_flat_scratch, 0
	.set _Z2mtPK18mt_struct_strippedPfi.has_dyn_sized_stack, 0
	.set _Z2mtPK18mt_struct_strippedPfi.has_recursion, 0
	.set _Z2mtPK18mt_struct_strippedPfi.has_indirect_call, 0
	.section	.AMDGPU.csdata,"",@progbits
; Kernel info:
; codeLenInByte = 788
; TotalNumSgprs: 17
; NumVgprs: 14
; ScratchSize: 80
; MemoryBound: 0
; FloatMode: 240
; IeeeMode: 1
; LDSByteSize: 0 bytes/workgroup (compile time only)
; SGPRBlocks: 2
; VGPRBlocks: 3
; NumSGPRsForWavesPerEU: 17
; NumVGPRsForWavesPerEU: 14
; Occupancy: 10
; WaveLimiterHint : 0
; COMPUTE_PGM_RSRC2:SCRATCH_EN: 1
; COMPUTE_PGM_RSRC2:USER_SGPR: 6
; COMPUTE_PGM_RSRC2:TRAP_HANDLER: 0
; COMPUTE_PGM_RSRC2:TGID_X_EN: 1
; COMPUTE_PGM_RSRC2:TGID_Y_EN: 0
; COMPUTE_PGM_RSRC2:TGID_Z_EN: 0
; COMPUTE_PGM_RSRC2:TIDIG_COMP_CNT: 0
	.section	.AMDGPU.gpr_maximums,"",@progbits
	.set amdgpu.max_num_vgpr, 0
	.set amdgpu.max_num_agpr, 0
	.set amdgpu.max_num_sgpr, 0
	.section	.AMDGPU.csdata,"",@progbits
	.type	__hip_cuid_f455868b20b300d7,@object ; @__hip_cuid_f455868b20b300d7
	.section	.bss,"aw",@nobits
	.globl	__hip_cuid_f455868b20b300d7
__hip_cuid_f455868b20b300d7:
	.byte	0                               ; 0x0
	.size	__hip_cuid_f455868b20b300d7, 1

	.ident	"AMD clang version 22.0.0git (https://github.com/RadeonOpenCompute/llvm-project roc-7.2.4 26084 f58b06dce1f9c15707c5f808fd002e18c2accf7e)"
	.section	".note.GNU-stack","",@progbits
	.addrsig
	.addrsig_sym __hip_cuid_f455868b20b300d7
	.amdgpu_metadata
---
amdhsa.kernels:
  - .args:
      - .address_space:  global
        .offset:         0
        .size:           8
        .value_kind:     global_buffer
      - .offset:         8
        .size:           4
        .value_kind:     by_value
      - .offset:         16
        .size:           4
        .value_kind:     hidden_block_count_x
      - .offset:         20
        .size:           4
        .value_kind:     hidden_block_count_y
      - .offset:         24
        .size:           4
        .value_kind:     hidden_block_count_z
      - .offset:         28
        .size:           2
        .value_kind:     hidden_group_size_x
      - .offset:         30
        .size:           2
        .value_kind:     hidden_group_size_y
      - .offset:         32
        .size:           2
        .value_kind:     hidden_group_size_z
      - .offset:         34
        .size:           2
        .value_kind:     hidden_remainder_x
      - .offset:         36
        .size:           2
        .value_kind:     hidden_remainder_y
      - .offset:         38
        .size:           2
        .value_kind:     hidden_remainder_z
      - .offset:         56
        .size:           8
        .value_kind:     hidden_global_offset_x
      - .offset:         64
        .size:           8
        .value_kind:     hidden_global_offset_y
      - .offset:         72
        .size:           8
        .value_kind:     hidden_global_offset_z
      - .offset:         80
        .size:           2
        .value_kind:     hidden_grid_dims
    .group_segment_fixed_size: 0
    .kernarg_segment_align: 8
    .kernarg_segment_size: 272
    .language:       OpenCL C
    .language_version:
      - 2
      - 0
    .max_flat_workgroup_size: 1024
    .name:           _Z9boxmullerPfi
    .private_segment_fixed_size: 0
    .sgpr_count:     33
    .sgpr_spill_count: 0
    .symbol:         _Z9boxmullerPfi.kd
    .uniform_work_group_size: 1
    .uses_dynamic_stack: false
    .vgpr_count:     27
    .vgpr_spill_count: 0
    .wavefront_size: 64
  - .args:
      - .address_space:  global
        .offset:         0
        .size:           8
        .value_kind:     global_buffer
      - .address_space:  global
        .offset:         8
        .size:           8
        .value_kind:     global_buffer
      - .offset:         16
        .size:           4
        .value_kind:     by_value
      - .offset:         24
        .size:           4
        .value_kind:     hidden_block_count_x
      - .offset:         28
        .size:           4
        .value_kind:     hidden_block_count_y
      - .offset:         32
        .size:           4
        .value_kind:     hidden_block_count_z
      - .offset:         36
        .size:           2
        .value_kind:     hidden_group_size_x
      - .offset:         38
        .size:           2
        .value_kind:     hidden_group_size_y
      - .offset:         40
        .size:           2
        .value_kind:     hidden_group_size_z
      - .offset:         42
        .size:           2
        .value_kind:     hidden_remainder_x
      - .offset:         44
        .size:           2
        .value_kind:     hidden_remainder_y
      - .offset:         46
        .size:           2
        .value_kind:     hidden_remainder_z
      - .offset:         64
        .size:           8
        .value_kind:     hidden_global_offset_x
      - .offset:         72
        .size:           8
        .value_kind:     hidden_global_offset_y
      - .offset:         80
        .size:           8
        .value_kind:     hidden_global_offset_z
      - .offset:         88
        .size:           2
        .value_kind:     hidden_grid_dims
    .group_segment_fixed_size: 0
    .kernarg_segment_align: 8
    .kernarg_segment_size: 280
    .language:       OpenCL C
    .language_version:
      - 2
      - 0
    .max_flat_workgroup_size: 1024
    .name:           _Z2mtPK18mt_struct_strippedPfi
    .private_segment_fixed_size: 80
    .sgpr_count:     17
    .sgpr_spill_count: 0
    .symbol:         _Z2mtPK18mt_struct_strippedPfi.kd
    .uniform_work_group_size: 1
    .uses_dynamic_stack: false
    .vgpr_count:     14
    .vgpr_spill_count: 0
    .wavefront_size: 64
amdhsa.target:   amdgcn-amd-amdhsa--gfx906
amdhsa.version:
  - 1
  - 2
...

	.end_amdgpu_metadata
